;; amdgpu-corpus repo=ROCm/rocFFT kind=compiled arch=gfx1030 opt=O3
	.text
	.amdgcn_target "amdgcn-amd-amdhsa--gfx1030"
	.amdhsa_code_object_version 6
	.protected	bluestein_single_back_len1024_dim1_half_op_CI_CI ; -- Begin function bluestein_single_back_len1024_dim1_half_op_CI_CI
	.globl	bluestein_single_back_len1024_dim1_half_op_CI_CI
	.p2align	8
	.type	bluestein_single_back_len1024_dim1_half_op_CI_CI,@function
bluestein_single_back_len1024_dim1_half_op_CI_CI: ; @bluestein_single_back_len1024_dim1_half_op_CI_CI
; %bb.0:
	s_load_dwordx4 s[16:19], s[4:5], 0x28
	s_mov_b32 s7, 0
	s_mov_b32 s1, exec_lo
	s_waitcnt lgkmcnt(0)
	v_cmpx_lt_u64_e64 s[6:7], s[16:17]
	s_cbranch_execz .LBB0_2
; %bb.1:
	s_clause 0x1
	s_load_dwordx4 s[0:3], s[4:5], 0x18
	s_load_dwordx4 s[8:11], s[4:5], 0x0
	v_mov_b32_e32 v18, s7
	v_mov_b32_e32 v17, s6
	v_lshlrev_b32_e32 v18, 2, v0
	v_lshlrev_b32_e32 v30, 5, v0
	v_and_b32_e32 v39, 63, v0
	v_or_b32_e32 v31, 0x800, v18
	v_or_b32_e32 v32, 0xa00, v18
	;; [unrolled: 1-line block ×4, first 2 shown]
	s_waitcnt lgkmcnt(0)
	s_load_dwordx4 s[12:15], s[0:1], 0x0
	s_add_u32 s6, s8, 0x1000
	s_addc_u32 s7, s9, 0
	s_waitcnt lgkmcnt(0)
	v_mad_u64_u32 v[1:2], null, s14, v17, 0
	v_mad_u64_u32 v[3:4], null, s12, v0, 0
	s_lshl_b64 s[0:1], s[12:13], 9
	v_mad_u64_u32 v[5:6], null, s15, v17, v[2:3]
	v_mad_u64_u32 v[6:7], null, s13, v0, v[4:5]
	v_mov_b32_e32 v2, v5
	v_lshlrev_b64 v[1:2], 2, v[1:2]
	v_mov_b32_e32 v4, v6
	v_add_co_u32 v1, vcc_lo, s18, v1
	v_lshlrev_b64 v[3:4], 2, v[3:4]
	v_add_co_ci_u32_e32 v2, vcc_lo, s19, v2, vcc_lo
	v_add_co_u32 v1, vcc_lo, v1, v3
	v_add_co_ci_u32_e32 v2, vcc_lo, v2, v4, vcc_lo
	global_load_dword v5, v[1:2], off
	v_add_co_u32 v1, vcc_lo, v1, s0
	v_add_co_ci_u32_e32 v2, vcc_lo, s1, v2, vcc_lo
	s_clause 0x3
	global_load_dword v23, v18, s[8:9]
	global_load_dword v21, v18, s[8:9] offset:512
	global_load_dword v20, v18, s[8:9] offset:1024
	;; [unrolled: 1-line block ×3, first 2 shown]
	global_load_dword v6, v[1:2], off
	v_add_co_u32 v1, vcc_lo, v1, s0
	v_add_co_ci_u32_e32 v2, vcc_lo, s1, v2, vcc_lo
	s_clause 0x1
	global_load_dword v22, v31, s[8:9]
	global_load_dword v24, v32, s[8:9]
	v_add_co_u32 v3, vcc_lo, v1, s0
	v_add_co_ci_u32_e32 v4, vcc_lo, s1, v2, vcc_lo
	s_clause 0x1
	global_load_dword v7, v[1:2], off
	global_load_dword v8, v[3:4], off
	v_add_co_u32 v1, vcc_lo, v3, s0
	v_add_co_ci_u32_e32 v2, vcc_lo, s1, v4, vcc_lo
	v_add_co_u32 v3, vcc_lo, v1, s0
	v_add_co_ci_u32_e32 v4, vcc_lo, s1, v2, vcc_lo
	global_load_dword v9, v[1:2], off
	v_add_co_u32 v1, vcc_lo, v3, s0
	v_add_co_ci_u32_e32 v2, vcc_lo, s1, v4, vcc_lo
	global_load_dword v10, v[3:4], off
	;; [unrolled: 3-line block ×3, first 2 shown]
	global_load_dword v2, v[3:4], off
	s_clause 0x1
	global_load_dword v26, v34, s[8:9]
	global_load_dword v25, v33, s[8:9]
	s_load_dwordx4 s[0:3], s[2:3], 0x0
	s_waitcnt vmcnt(15)
	v_lshrrev_b32_e32 v3, 16, v5
	s_waitcnt vmcnt(14)
	v_mul_f16_sdwa v4, v23, v5 dst_sel:DWORD dst_unused:UNUSED_PAD src0_sel:WORD_1 src1_sel:DWORD
	v_mul_f16_sdwa v11, v23, v3 dst_sel:DWORD dst_unused:UNUSED_PAD src0_sel:WORD_1 src1_sel:DWORD
	s_waitcnt vmcnt(10)
	v_lshrrev_b32_e32 v12, 16, v6
	v_fma_f16 v3, v23, v3, -v4
	v_mul_f16_sdwa v4, v21, v6 dst_sel:DWORD dst_unused:UNUSED_PAD src0_sel:WORD_1 src1_sel:DWORD
	v_fmac_f16_e32 v11, v23, v5
	v_mul_f16_sdwa v5, v21, v12 dst_sel:DWORD dst_unused:UNUSED_PAD src0_sel:WORD_1 src1_sel:DWORD
	v_fma_f16 v4, v21, v12, -v4
	v_pack_b32_f16 v3, v11, v3
	s_waitcnt vmcnt(7)
	v_lshrrev_b32_e32 v13, 16, v7
	v_mul_f16_sdwa v14, v20, v7 dst_sel:DWORD dst_unused:UNUSED_PAD src0_sel:WORD_1 src1_sel:DWORD
	v_fmac_f16_e32 v5, v21, v6
	s_waitcnt vmcnt(6)
	v_lshrrev_b32_e32 v12, 16, v8
	v_mul_f16_sdwa v6, v20, v13 dst_sel:DWORD dst_unused:UNUSED_PAD src0_sel:WORD_1 src1_sel:DWORD
	v_fma_f16 v11, v20, v13, -v14
	v_mul_f16_sdwa v13, v19, v8 dst_sel:DWORD dst_unused:UNUSED_PAD src0_sel:WORD_1 src1_sel:DWORD
	v_pack_b32_f16 v4, v5, v4
	v_fmac_f16_e32 v6, v20, v7
	v_mul_f16_sdwa v7, v19, v12 dst_sel:DWORD dst_unused:UNUSED_PAD src0_sel:WORD_1 src1_sel:DWORD
	v_fma_f16 v12, v19, v12, -v13
	s_waitcnt vmcnt(5)
	v_lshrrev_b32_e32 v5, 16, v9
	v_mul_f16_sdwa v13, v22, v9 dst_sel:DWORD dst_unused:UNUSED_PAD src0_sel:WORD_1 src1_sel:DWORD
	v_pack_b32_f16 v6, v6, v11
	v_fmac_f16_e32 v7, v19, v8
	v_mul_f16_sdwa v11, v22, v5 dst_sel:DWORD dst_unused:UNUSED_PAD src0_sel:WORD_1 src1_sel:DWORD
	s_waitcnt vmcnt(4)
	v_lshrrev_b32_e32 v8, 16, v10
	v_fma_f16 v5, v22, v5, -v13
	v_mul_f16_sdwa v13, v24, v10 dst_sel:DWORD dst_unused:UNUSED_PAD src0_sel:WORD_1 src1_sel:DWORD
	v_fmac_f16_e32 v11, v22, v9
	s_waitcnt vmcnt(3)
	v_lshrrev_b32_e32 v9, 16, v1
	s_waitcnt vmcnt(2)
	v_lshrrev_b32_e32 v15, 16, v2
	v_mul_f16_sdwa v14, v24, v8 dst_sel:DWORD dst_unused:UNUSED_PAD src0_sel:WORD_1 src1_sel:DWORD
	v_fma_f16 v8, v24, v8, -v13
	s_waitcnt vmcnt(1)
	v_mul_f16_sdwa v13, v26, v1 dst_sel:DWORD dst_unused:UNUSED_PAD src0_sel:WORD_1 src1_sel:DWORD
	v_mul_f16_sdwa v16, v26, v9 dst_sel:DWORD dst_unused:UNUSED_PAD src0_sel:WORD_1 src1_sel:DWORD
	s_waitcnt vmcnt(0)
	v_mul_f16_sdwa v27, v25, v2 dst_sel:DWORD dst_unused:UNUSED_PAD src0_sel:WORD_1 src1_sel:DWORD
	v_mul_f16_sdwa v28, v25, v15 dst_sel:DWORD dst_unused:UNUSED_PAD src0_sel:WORD_1 src1_sel:DWORD
	v_fmac_f16_e32 v14, v24, v10
	v_fma_f16 v9, v26, v9, -v13
	v_fmac_f16_e32 v16, v26, v1
	v_fma_f16 v1, v25, v15, -v27
	v_fmac_f16_e32 v28, v25, v2
	v_pack_b32_f16 v2, v7, v12
	v_pack_b32_f16 v5, v11, v5
	;; [unrolled: 1-line block ×5, first 2 shown]
	ds_write2st64_b32 v18, v3, v4 offset1:2
	ds_write2st64_b32 v18, v6, v2 offset0:4 offset1:6
	ds_write2st64_b32 v18, v5, v7 offset0:8 offset1:10
	;; [unrolled: 1-line block ×3, first 2 shown]
	s_waitcnt lgkmcnt(0)
	s_barrier
	buffer_gl0_inv
	ds_read2st64_b32 v[1:2], v18 offset1:2
	ds_read2st64_b32 v[3:4], v18 offset0:4 offset1:6
	ds_read2st64_b32 v[5:6], v18 offset0:8 offset1:10
	;; [unrolled: 1-line block ×3, first 2 shown]
	v_and_b32_e32 v16, 7, v0
	s_waitcnt lgkmcnt(0)
	s_barrier
	buffer_gl0_inv
	v_mad_u64_u32 v[9:10], null, v16, 28, s[10:11]
	v_pk_add_f16 v5, v1, v5 neg_lo:[0,1] neg_hi:[0,1]
	v_pk_add_f16 v7, v3, v7 neg_lo:[0,1] neg_hi:[0,1]
	;; [unrolled: 1-line block ×4, first 2 shown]
	v_pk_fma_f16 v1, v1, 2.0, v5 op_sel_hi:[1,0,1] neg_lo:[0,0,1] neg_hi:[0,0,1]
	v_pk_fma_f16 v3, v3, 2.0, v7 op_sel_hi:[1,0,1] neg_lo:[0,0,1] neg_hi:[0,0,1]
	;; [unrolled: 1-line block ×4, first 2 shown]
	v_lshrrev_b32_e32 v11, 16, v5
	v_sub_f16_sdwa v12, v5, v7 dst_sel:DWORD dst_unused:UNUSED_PAD src0_sel:DWORD src1_sel:WORD_1
	v_lshrrev_b32_e32 v14, 16, v6
	v_sub_f16_sdwa v13, v6, v8 dst_sel:DWORD dst_unused:UNUSED_PAD src0_sel:DWORD src1_sel:WORD_1
	v_pk_add_f16 v3, v1, v3 neg_lo:[0,1] neg_hi:[0,1]
	v_add_f16_e32 v7, v11, v7
	v_fma_f16 v15, v5, 2.0, -v12
	v_pk_add_f16 v4, v2, v4 neg_lo:[0,1] neg_hi:[0,1]
	v_add_f16_e32 v5, v14, v8
	v_fma_f16 v6, v6, 2.0, -v13
	v_pk_fma_f16 v27, v1, 2.0, v3 op_sel_hi:[1,0,1] neg_lo:[0,0,1] neg_hi:[0,0,1]
	v_fma_f16 v11, v11, 2.0, -v7
	v_pk_fma_f16 v1, v2, 2.0, v4 op_sel_hi:[1,0,1] neg_lo:[0,0,1] neg_hi:[0,0,1]
	v_fma_f16 v2, v14, 2.0, -v5
	v_fmamk_f16 v8, v13, 0x39a8, v12
	v_fmamk_f16 v14, v6, 0xb9a8, v15
	v_lshrrev_b32_e32 v29, 16, v3
	v_fmamk_f16 v35, v5, 0x39a8, v7
	v_fmamk_f16 v36, v2, 0xb9a8, v11
	v_sub_f16_sdwa v28, v3, v4 dst_sel:DWORD dst_unused:UNUSED_PAD src0_sel:DWORD src1_sel:WORD_1
	v_fmac_f16_e32 v8, 0xb9a8, v5
	v_fmac_f16_e32 v14, 0xb9a8, v2
	v_add_f16_e32 v2, v29, v4
	v_fmac_f16_e32 v35, 0x39a8, v13
	v_fmac_f16_e32 v36, 0x39a8, v6
	v_pk_add_f16 v1, v27, v1 neg_lo:[0,1] neg_hi:[0,1]
	v_fma_f16 v37, v3, 2.0, -v28
	v_fma_f16 v12, v12, 2.0, -v8
	;; [unrolled: 1-line block ×6, first 2 shown]
	v_pack_b32_f16 v4, v8, v35
	v_pack_b32_f16 v3, v28, v2
	;; [unrolled: 1-line block ×3, first 2 shown]
	v_pk_fma_f16 v5, v27, 2.0, v1 op_sel_hi:[1,0,1] neg_lo:[0,0,1] neg_hi:[0,0,1]
	v_pack_b32_f16 v8, v12, v7
	v_pack_b32_f16 v7, v37, v13
	;; [unrolled: 1-line block ×3, first 2 shown]
	ds_write_b128 v30, v[1:4] offset:16
	ds_write_b128 v30, v[5:8]
	s_waitcnt lgkmcnt(0)
	s_barrier
	buffer_gl0_inv
	s_clause 0x1
	global_load_dwordx4 v[1:4], v[9:10], off
	global_load_dwordx3 v[5:7], v[9:10], off offset:16
	ds_read2st64_b32 v[8:9], v18 offset1:2
	ds_read2st64_b32 v[10:11], v18 offset0:4 offset1:6
	ds_read2st64_b32 v[12:13], v18 offset0:8 offset1:10
	;; [unrolled: 1-line block ×3, first 2 shown]
	v_lshlrev_b32_e32 v27, 3, v0
	v_mad_u64_u32 v[28:29], null, v39, 12, s[10:11]
	s_waitcnt vmcnt(0) lgkmcnt(0)
	s_barrier
	v_and_or_b32 v16, 0x3c0, v27, v16
	buffer_gl0_inv
	v_lshlrev_b32_e32 v27, 2, v16
	v_lshrrev_b32_e32 v35, 16, v9
	v_lshrrev_b32_e32 v36, 16, v10
	;; [unrolled: 1-line block ×8, first 2 shown]
	v_mul_f16_sdwa v43, v35, v1 dst_sel:DWORD dst_unused:UNUSED_PAD src0_sel:DWORD src1_sel:WORD_1
	v_mul_f16_sdwa v44, v9, v1 dst_sel:DWORD dst_unused:UNUSED_PAD src0_sel:DWORD src1_sel:WORD_1
	;; [unrolled: 1-line block ×14, first 2 shown]
	v_fma_f16 v9, v9, v1, -v43
	v_fmac_f16_e32 v44, v35, v1
	v_fma_f16 v10, v10, v2, -v45
	v_fmac_f16_e32 v46, v36, v2
	;; [unrolled: 2-line block ×7, first 2 shown]
	v_sub_f16_e32 v12, v8, v12
	v_sub_f16_e32 v35, v16, v50
	;; [unrolled: 1-line block ×8, first 2 shown]
	v_fma_f16 v8, v8, 2.0, -v12
	v_fma_f16 v16, v16, 2.0, -v35
	;; [unrolled: 1-line block ×8, first 2 shown]
	v_sub_f16_e32 v36, v12, v36
	v_add_f16_e32 v14, v35, v14
	v_sub_f16_e32 v38, v13, v38
	v_add_f16_e32 v15, v37, v15
	v_sub_f16_e32 v10, v8, v10
	v_sub_f16_e32 v40, v16, v40
	v_fma_f16 v12, v12, 2.0, -v36
	v_fma_f16 v35, v35, 2.0, -v14
	v_sub_f16_e32 v11, v9, v11
	v_sub_f16_e32 v42, v41, v42
	v_fma_f16 v13, v13, 2.0, -v38
	v_fma_f16 v37, v37, 2.0, -v15
	v_fmamk_f16 v43, v38, 0x39a8, v36
	v_fmamk_f16 v44, v15, 0x39a8, v14
	v_fma_f16 v8, v8, 2.0, -v10
	v_fma_f16 v16, v16, 2.0, -v40
	;; [unrolled: 1-line block ×4, first 2 shown]
	v_fmamk_f16 v45, v13, 0xb9a8, v12
	v_fmamk_f16 v46, v37, 0xb9a8, v35
	v_sub_f16_e32 v42, v10, v42
	v_add_f16_e32 v11, v40, v11
	v_fmac_f16_e32 v43, 0xb9a8, v15
	v_fmac_f16_e32 v44, 0x39a8, v38
	v_sub_f16_e32 v9, v8, v9
	v_sub_f16_e32 v15, v16, v41
	v_fmac_f16_e32 v45, 0xb9a8, v37
	v_fmac_f16_e32 v46, 0x39a8, v13
	v_fma_f16 v10, v10, 2.0, -v42
	v_fma_f16 v13, v40, 2.0, -v11
	v_fma_f16 v36, v36, 2.0, -v43
	v_fma_f16 v14, v14, 2.0, -v44
	v_fma_f16 v8, v8, 2.0, -v9
	v_fma_f16 v16, v16, 2.0, -v15
	v_fma_f16 v12, v12, 2.0, -v45
	v_fma_f16 v35, v35, 2.0, -v46
	v_pack_b32_f16 v11, v42, v11
	v_pack_b32_f16 v37, v43, v44
	;; [unrolled: 1-line block ×8, first 2 shown]
	ds_write2_b32 v27, v11, v37 offset0:48 offset1:56
	ds_write2_b32 v27, v10, v13 offset0:16 offset1:24
	;; [unrolled: 1-line block ×3, first 2 shown]
	ds_write2_b32 v27, v8, v12 offset1:8
	s_waitcnt lgkmcnt(0)
	s_barrier
	buffer_gl0_inv
	global_load_dwordx3 v[8:10], v[28:29], off offset:224
	ds_read2st64_b32 v[11:12], v18 offset1:2
	ds_read2st64_b32 v[13:14], v18 offset0:4 offset1:6
	ds_read2st64_b32 v[15:16], v18 offset0:8 offset1:10
	;; [unrolled: 1-line block ×3, first 2 shown]
	v_or_b32_e32 v28, 0x200, v18
	v_mad_u64_u32 v[37:38], null, v0, 12, s[10:11]
	v_and_or_b32 v29, 0x100, v18, v39
	s_waitcnt vmcnt(0) lgkmcnt(0)
	v_and_or_b32 v39, 0x300, v28, v39
	s_barrier
	buffer_gl0_inv
	v_lshlrev_b32_e32 v28, 2, v29
	v_lshlrev_b32_e32 v29, 2, v39
	v_add_co_u32 v39, vcc_lo, 0x800, v37
	v_add_co_ci_u32_e32 v40, vcc_lo, 0, v38, vcc_lo
	v_lshrrev_b32_e32 v41, 16, v11
	v_lshrrev_b32_e32 v42, 16, v13
	;; [unrolled: 1-line block ×8, first 2 shown]
	v_mul_f16_sdwa v50, v13, v8 dst_sel:DWORD dst_unused:UNUSED_PAD src0_sel:DWORD src1_sel:WORD_1
	v_mul_f16_sdwa v52, v15, v9 dst_sel:DWORD dst_unused:UNUSED_PAD src0_sel:DWORD src1_sel:WORD_1
	;; [unrolled: 1-line block ×10, first 2 shown]
	v_fmac_f16_e32 v50, v42, v8
	v_mul_f16_sdwa v42, v48, v10 dst_sel:DWORD dst_unused:UNUSED_PAD src0_sel:DWORD src1_sel:WORD_1
	v_fmac_f16_e32 v52, v43, v9
	v_mul_f16_sdwa v43, v36, v10 dst_sel:DWORD dst_unused:UNUSED_PAD src0_sel:DWORD src1_sel:WORD_1
	v_fma_f16 v13, v13, v8, -v49
	v_fma_f16 v15, v15, v9, -v51
	;; [unrolled: 1-line block ×3, first 2 shown]
	v_fmac_f16_e32 v54, v44, v10
	v_fma_f16 v14, v14, v8, -v55
	v_fmac_f16_e32 v56, v46, v8
	v_fma_f16 v16, v16, v9, -v57
	;; [unrolled: 2-line block ×3, first 2 shown]
	v_fmac_f16_e32 v43, v48, v10
	v_sub_f16_e32 v15, v11, v15
	v_sub_f16_e32 v42, v41, v52
	v_sub_f16_e32 v35, v13, v35
	v_sub_f16_e32 v44, v50, v54
	v_sub_f16_e32 v16, v12, v16
	v_sub_f16_e32 v46, v45, v58
	v_sub_f16_e32 v36, v14, v36
	v_sub_f16_e32 v43, v56, v43
	v_fma_f16 v11, v11, 2.0, -v15
	v_fma_f16 v41, v41, 2.0, -v42
	;; [unrolled: 1-line block ×8, first 2 shown]
	v_sub_f16_e32 v44, v15, v44
	v_add_f16_e32 v35, v42, v35
	v_sub_f16_e32 v13, v11, v13
	v_sub_f16_e32 v47, v41, v47
	;; [unrolled: 1-line block ×3, first 2 shown]
	v_add_f16_e32 v36, v46, v36
	v_sub_f16_e32 v14, v12, v14
	v_sub_f16_e32 v48, v45, v48
	v_fma_f16 v15, v15, 2.0, -v44
	v_fma_f16 v42, v42, 2.0, -v35
	;; [unrolled: 1-line block ×6, first 2 shown]
	v_pack_b32_f16 v36, v43, v36
	v_fma_f16 v12, v12, 2.0, -v14
	v_fma_f16 v43, v45, 2.0, -v48
	v_pack_b32_f16 v35, v44, v35
	v_pack_b32_f16 v13, v13, v47
	;; [unrolled: 1-line block ×7, first 2 shown]
	ds_write2st64_b32 v28, v13, v35 offset0:2 offset1:3
	ds_write2st64_b32 v29, v14, v36 offset0:2 offset1:3
	ds_write2st64_b32 v28, v11, v15 offset1:1
	ds_write2st64_b32 v29, v12, v16 offset1:1
	s_waitcnt lgkmcnt(0)
	s_barrier
	buffer_gl0_inv
	s_clause 0x1
	global_load_dwordx3 v[11:13], v[37:38], off offset:992
	global_load_dwordx3 v[14:16], v[39:40], off offset:480
	ds_read2st64_b32 v[35:36], v18 offset1:2
	ds_read2st64_b32 v[37:38], v18 offset0:4 offset1:6
	ds_read2st64_b32 v[39:40], v18 offset0:8 offset1:10
	;; [unrolled: 1-line block ×3, first 2 shown]
	s_waitcnt lgkmcnt(3)
	v_lshrrev_b32_e32 v43, 16, v35
	s_waitcnt lgkmcnt(2)
	v_lshrrev_b32_e32 v44, 16, v37
	v_lshrrev_b32_e32 v48, 16, v38
	s_waitcnt lgkmcnt(1)
	v_lshrrev_b32_e32 v45, 16, v39
	s_waitcnt lgkmcnt(0)
	v_lshrrev_b32_e32 v46, 16, v41
	v_lshrrev_b32_e32 v49, 16, v40
	;; [unrolled: 1-line block ×4, first 2 shown]
	s_waitcnt vmcnt(1)
	v_mul_f16_sdwa v51, v44, v11 dst_sel:DWORD dst_unused:UNUSED_PAD src0_sel:DWORD src1_sel:WORD_1
	v_mul_f16_sdwa v52, v37, v11 dst_sel:DWORD dst_unused:UNUSED_PAD src0_sel:DWORD src1_sel:WORD_1
	;; [unrolled: 1-line block ×3, first 2 shown]
	s_waitcnt vmcnt(0)
	v_mul_f16_sdwa v55, v48, v14 dst_sel:DWORD dst_unused:UNUSED_PAD src0_sel:DWORD src1_sel:WORD_1
	v_mul_f16_sdwa v53, v45, v12 dst_sel:DWORD dst_unused:UNUSED_PAD src0_sel:DWORD src1_sel:WORD_1
	;; [unrolled: 1-line block ×5, first 2 shown]
	v_fma_f16 v37, v37, v11, -v51
	v_fma_f16 v38, v38, v14, -v55
	v_mul_f16_sdwa v51, v49, v15 dst_sel:DWORD dst_unused:UNUSED_PAD src0_sel:DWORD src1_sel:WORD_1
	v_mul_f16_sdwa v55, v40, v15 dst_sel:DWORD dst_unused:UNUSED_PAD src0_sel:DWORD src1_sel:WORD_1
	v_fmac_f16_e32 v52, v44, v11
	v_mul_f16_sdwa v44, v50, v16 dst_sel:DWORD dst_unused:UNUSED_PAD src0_sel:DWORD src1_sel:WORD_1
	v_fmac_f16_e32 v54, v45, v12
	v_mul_f16_sdwa v45, v42, v16 dst_sel:DWORD dst_unused:UNUSED_PAD src0_sel:DWORD src1_sel:WORD_1
	v_fma_f16 v39, v39, v12, -v53
	v_fma_f16 v41, v41, v13, -v56
	v_fmac_f16_e32 v57, v46, v13
	v_fmac_f16_e32 v58, v48, v14
	v_fma_f16 v40, v40, v15, -v51
	v_fmac_f16_e32 v55, v49, v15
	v_fma_f16 v42, v42, v16, -v44
	v_fmac_f16_e32 v45, v50, v16
	v_sub_f16_e32 v39, v35, v39
	v_sub_f16_e32 v44, v43, v54
	;; [unrolled: 1-line block ×8, first 2 shown]
	v_fma_f16 v35, v35, 2.0, -v39
	v_fma_f16 v43, v43, 2.0, -v44
	;; [unrolled: 1-line block ×8, first 2 shown]
	v_sub_f16_e32 v46, v39, v46
	v_add_f16_e32 v41, v44, v41
	v_sub_f16_e32 v45, v40, v45
	v_add_f16_e32 v42, v48, v42
	v_sub_f16_e32 v37, v35, v37
	v_sub_f16_e32 v49, v43, v49
	v_sub_f16_e32 v38, v36, v38
	v_sub_f16_e32 v50, v47, v50
	v_fma_f16 v39, v39, 2.0, -v46
	v_fma_f16 v44, v44, 2.0, -v41
	;; [unrolled: 1-line block ×4, first 2 shown]
	v_pack_b32_f16 v42, v45, v42
	v_fma_f16 v35, v35, 2.0, -v37
	v_fma_f16 v43, v43, 2.0, -v49
	;; [unrolled: 1-line block ×4, first 2 shown]
	v_pack_b32_f16 v41, v46, v41
	v_pack_b32_f16 v39, v39, v44
	;; [unrolled: 1-line block ×7, first 2 shown]
	ds_write2st64_b32 v18, v41, v42 offset0:12 offset1:14
	ds_write2st64_b32 v18, v39, v40 offset0:4 offset1:6
	;; [unrolled: 1-line block ×3, first 2 shown]
	ds_write2st64_b32 v18, v35, v36 offset1:2
	s_waitcnt lgkmcnt(0)
	s_barrier
	buffer_gl0_inv
	s_clause 0x7
	global_load_dword v39, v18, s[6:7]
	global_load_dword v40, v18, s[6:7] offset:512
	global_load_dword v41, v18, s[6:7] offset:1024
	;; [unrolled: 1-line block ×3, first 2 shown]
	global_load_dword v43, v31, s[6:7]
	global_load_dword v44, v32, s[6:7]
	;; [unrolled: 1-line block ×4, first 2 shown]
	ds_read2st64_b32 v[31:32], v18 offset1:2
	ds_read2st64_b32 v[33:34], v18 offset0:4 offset1:6
	ds_read2st64_b32 v[35:36], v18 offset0:8 offset1:10
	;; [unrolled: 1-line block ×3, first 2 shown]
	s_waitcnt lgkmcnt(3)
	v_lshrrev_b32_e32 v47, 16, v31
	v_lshrrev_b32_e32 v48, 16, v32
	s_waitcnt lgkmcnt(2)
	v_lshrrev_b32_e32 v49, 16, v33
	v_lshrrev_b32_e32 v50, 16, v34
	;; [unrolled: 3-line block ×4, first 2 shown]
	s_waitcnt vmcnt(7)
	v_mul_f16_sdwa v54, v31, v39 dst_sel:DWORD dst_unused:UNUSED_PAD src0_sel:DWORD src1_sel:WORD_1
	v_mul_f16_sdwa v56, v47, v39 dst_sel:DWORD dst_unused:UNUSED_PAD src0_sel:DWORD src1_sel:WORD_1
	s_waitcnt vmcnt(6)
	v_mul_f16_sdwa v57, v48, v40 dst_sel:DWORD dst_unused:UNUSED_PAD src0_sel:DWORD src1_sel:WORD_1
	v_mul_f16_sdwa v58, v32, v40 dst_sel:DWORD dst_unused:UNUSED_PAD src0_sel:DWORD src1_sel:WORD_1
	v_fmac_f16_e32 v54, v47, v39
	s_waitcnt vmcnt(5)
	v_mul_f16_sdwa v47, v49, v41 dst_sel:DWORD dst_unused:UNUSED_PAD src0_sel:DWORD src1_sel:WORD_1
	v_fma_f16 v31, v31, v39, -v56
	v_mul_f16_sdwa v39, v33, v41 dst_sel:DWORD dst_unused:UNUSED_PAD src0_sel:DWORD src1_sel:WORD_1
	v_fma_f16 v32, v32, v40, -v57
	s_waitcnt vmcnt(4)
	v_mul_f16_sdwa v56, v50, v42 dst_sel:DWORD dst_unused:UNUSED_PAD src0_sel:DWORD src1_sel:WORD_1
	v_mul_f16_sdwa v57, v34, v42 dst_sel:DWORD dst_unused:UNUSED_PAD src0_sel:DWORD src1_sel:WORD_1
	v_fmac_f16_e32 v58, v48, v40
	s_waitcnt vmcnt(3)
	v_mul_f16_sdwa v40, v51, v43 dst_sel:DWORD dst_unused:UNUSED_PAD src0_sel:DWORD src1_sel:WORD_1
	v_mul_f16_sdwa v48, v35, v43 dst_sel:DWORD dst_unused:UNUSED_PAD src0_sel:DWORD src1_sel:WORD_1
	v_fmac_f16_e32 v39, v49, v41
	s_waitcnt vmcnt(2)
	v_mul_f16_sdwa v49, v52, v44 dst_sel:DWORD dst_unused:UNUSED_PAD src0_sel:DWORD src1_sel:WORD_1
	v_fma_f16 v33, v33, v41, -v47
	v_mul_f16_sdwa v41, v36, v44 dst_sel:DWORD dst_unused:UNUSED_PAD src0_sel:DWORD src1_sel:WORD_1
	v_fma_f16 v34, v34, v42, -v56
	s_waitcnt vmcnt(1)
	v_mul_f16_sdwa v47, v53, v45 dst_sel:DWORD dst_unused:UNUSED_PAD src0_sel:DWORD src1_sel:WORD_1
	v_mul_f16_sdwa v56, v37, v45 dst_sel:DWORD dst_unused:UNUSED_PAD src0_sel:DWORD src1_sel:WORD_1
	v_fmac_f16_e32 v57, v50, v42
	s_waitcnt vmcnt(0)
	v_mul_f16_sdwa v42, v55, v46 dst_sel:DWORD dst_unused:UNUSED_PAD src0_sel:DWORD src1_sel:WORD_1
	v_mul_f16_sdwa v50, v38, v46 dst_sel:DWORD dst_unused:UNUSED_PAD src0_sel:DWORD src1_sel:WORD_1
	v_fma_f16 v35, v35, v43, -v40
	v_fmac_f16_e32 v48, v51, v43
	v_fma_f16 v36, v36, v44, -v49
	v_fmac_f16_e32 v41, v52, v44
	;; [unrolled: 2-line block ×4, first 2 shown]
	v_pack_b32_f16 v31, v31, v54
	v_pack_b32_f16 v32, v32, v58
	;; [unrolled: 1-line block ×8, first 2 shown]
	ds_write2st64_b32 v18, v31, v32 offset1:2
	ds_write2st64_b32 v18, v33, v34 offset0:4 offset1:6
	ds_write2st64_b32 v18, v35, v36 offset0:8 offset1:10
	;; [unrolled: 1-line block ×3, first 2 shown]
	s_waitcnt lgkmcnt(0)
	s_barrier
	buffer_gl0_inv
	ds_read2st64_b32 v[31:32], v18 offset1:2
	ds_read2st64_b32 v[33:34], v18 offset0:4 offset1:6
	ds_read2st64_b32 v[35:36], v18 offset0:8 offset1:10
	;; [unrolled: 1-line block ×3, first 2 shown]
	s_waitcnt lgkmcnt(0)
	s_barrier
	buffer_gl0_inv
	v_pk_add_f16 v35, v31, v35 neg_lo:[0,1] neg_hi:[0,1]
	v_pk_add_f16 v37, v33, v37 neg_lo:[0,1] neg_hi:[0,1]
	;; [unrolled: 1-line block ×4, first 2 shown]
	v_pk_fma_f16 v31, v31, 2.0, v35 op_sel_hi:[1,0,1] neg_lo:[0,0,1] neg_hi:[0,0,1]
	v_pk_fma_f16 v33, v33, 2.0, v37 op_sel_hi:[1,0,1] neg_lo:[0,0,1] neg_hi:[0,0,1]
	;; [unrolled: 1-line block ×4, first 2 shown]
	v_lshrrev_b32_e32 v39, 16, v35
	v_add_f16_sdwa v40, v35, v37 dst_sel:DWORD dst_unused:UNUSED_PAD src0_sel:DWORD src1_sel:WORD_1
	v_lshrrev_b32_e32 v42, 16, v36
	v_add_f16_sdwa v41, v36, v38 dst_sel:DWORD dst_unused:UNUSED_PAD src0_sel:DWORD src1_sel:WORD_1
	v_pk_add_f16 v33, v31, v33 neg_lo:[0,1] neg_hi:[0,1]
	v_sub_f16_e32 v37, v39, v37
	v_fma_f16 v43, v35, 2.0, -v40
	v_pk_add_f16 v34, v32, v34 neg_lo:[0,1] neg_hi:[0,1]
	v_sub_f16_e32 v35, v42, v38
	v_fma_f16 v36, v36, 2.0, -v41
	v_pk_fma_f16 v44, v31, 2.0, v33 op_sel_hi:[1,0,1] neg_lo:[0,0,1] neg_hi:[0,0,1]
	v_fma_f16 v39, v39, 2.0, -v37
	v_pk_fma_f16 v31, v32, 2.0, v34 op_sel_hi:[1,0,1] neg_lo:[0,0,1] neg_hi:[0,0,1]
	v_fma_f16 v32, v42, 2.0, -v35
	v_fmamk_f16 v38, v41, 0x39a8, v40
	v_fmamk_f16 v42, v36, 0xb9a8, v43
	v_lshrrev_b32_e32 v46, 16, v33
	v_fmamk_f16 v47, v35, 0x39a8, v37
	v_fmamk_f16 v48, v32, 0xb9a8, v39
	v_add_f16_sdwa v45, v33, v34 dst_sel:DWORD dst_unused:UNUSED_PAD src0_sel:DWORD src1_sel:WORD_1
	v_fmac_f16_e32 v38, 0x39a8, v35
	v_fmac_f16_e32 v42, 0x39a8, v32
	v_sub_f16_e32 v32, v46, v34
	v_fmac_f16_e32 v47, 0xb9a8, v41
	v_fmac_f16_e32 v48, 0xb9a8, v36
	v_pk_add_f16 v31, v44, v31 neg_lo:[0,1] neg_hi:[0,1]
	v_fma_f16 v49, v33, 2.0, -v45
	v_fma_f16 v40, v40, 2.0, -v38
	;; [unrolled: 1-line block ×6, first 2 shown]
	v_pack_b32_f16 v34, v38, v47
	v_pack_b32_f16 v33, v45, v32
	;; [unrolled: 1-line block ×3, first 2 shown]
	v_pk_fma_f16 v35, v44, 2.0, v31 op_sel_hi:[1,0,1] neg_lo:[0,0,1] neg_hi:[0,0,1]
	v_pack_b32_f16 v38, v40, v37
	v_pack_b32_f16 v37, v49, v41
	;; [unrolled: 1-line block ×3, first 2 shown]
	ds_write_b128 v30, v[31:34] offset:16
	ds_write_b128 v30, v[35:38]
	s_waitcnt lgkmcnt(0)
	s_barrier
	buffer_gl0_inv
	ds_read2st64_b32 v[30:31], v18 offset1:2
	ds_read2st64_b32 v[32:33], v18 offset0:4 offset1:6
	ds_read2st64_b32 v[36:37], v18 offset0:8 offset1:10
	;; [unrolled: 1-line block ×3, first 2 shown]
	v_mad_u64_u32 v[34:35], null, s2, v17, 0
	v_mad_u64_u32 v[40:41], null, s0, v0, 0
	s_waitcnt lgkmcnt(0)
	s_barrier
	buffer_gl0_inv
	v_mul_f16_sdwa v49, v1, v31 dst_sel:DWORD dst_unused:UNUSED_PAD src0_sel:WORD_1 src1_sel:DWORD
	v_mad_u64_u32 v[42:43], null, s3, v17, v[35:36]
	v_lshrrev_b32_e32 v35, 16, v31
	v_lshrrev_b32_e32 v43, 16, v32
	;; [unrolled: 1-line block ×7, first 2 shown]
	v_mul_f16_sdwa v50, v2, v32 dst_sel:DWORD dst_unused:UNUSED_PAD src0_sel:WORD_1 src1_sel:DWORD
	v_mul_f16_sdwa v51, v3, v33 dst_sel:DWORD dst_unused:UNUSED_PAD src0_sel:WORD_1 src1_sel:DWORD
	;; [unrolled: 1-line block ×6, first 2 shown]
	v_fma_f16 v49, v1, v35, -v49
	v_mul_f16_sdwa v35, v1, v35 dst_sel:DWORD dst_unused:UNUSED_PAD src0_sel:WORD_1 src1_sel:DWORD
	v_fma_f16 v50, v2, v43, -v50
	v_mul_f16_sdwa v43, v2, v43 dst_sel:DWORD dst_unused:UNUSED_PAD src0_sel:WORD_1 src1_sel:DWORD
	;; [unrolled: 2-line block ×7, first 2 shown]
	v_lshrrev_b32_e32 v17, 16, v30
	v_fmac_f16_e32 v35, v1, v31
	v_fmac_f16_e32 v43, v2, v32
	;; [unrolled: 1-line block ×7, first 2 shown]
	v_sub_f16_e32 v1, v17, v52
	v_sub_f16_e32 v2, v50, v54
	;; [unrolled: 1-line block ×8, first 2 shown]
	v_fma_f16 v6, v17, 2.0, -v1
	v_fma_f16 v17, v50, 2.0, -v2
	;; [unrolled: 1-line block ×8, first 2 shown]
	v_add_f16_e32 v2, v5, v2
	v_sub_f16_e32 v7, v1, v7
	v_add_f16_e32 v4, v31, v4
	v_sub_f16_e32 v33, v3, v33
	v_sub_f16_e32 v17, v6, v17
	;; [unrolled: 1-line block ×4, first 2 shown]
	v_fma_f16 v5, v5, 2.0, -v2
	v_fma_f16 v1, v1, 2.0, -v7
	v_sub_f16_e32 v38, v35, v38
	v_fma_f16 v31, v31, 2.0, -v4
	v_fma_f16 v3, v3, 2.0, -v33
	v_fmamk_f16 v39, v4, 0x39a8, v2
	v_fmamk_f16 v43, v33, 0x39a8, v7
	v_fma_f16 v6, v6, 2.0, -v17
	v_fma_f16 v32, v32, 2.0, -v36
	v_fma_f16 v30, v30, 2.0, -v37
	v_fma_f16 v35, v35, 2.0, -v38
	v_fmamk_f16 v44, v31, 0xb9a8, v5
	v_fmamk_f16 v45, v3, 0xb9a8, v1
	v_add_f16_e32 v36, v37, v36
	v_sub_f16_e32 v38, v17, v38
	v_fmac_f16_e32 v39, 0x39a8, v33
	v_fmac_f16_e32 v43, 0xb9a8, v4
	v_sub_f16_e32 v32, v6, v32
	v_sub_f16_e32 v4, v30, v35
	v_fmac_f16_e32 v44, 0x39a8, v3
	v_fmac_f16_e32 v45, 0xb9a8, v31
	v_fma_f16 v3, v37, 2.0, -v36
	v_fma_f16 v17, v17, 2.0, -v38
	;; [unrolled: 1-line block ×8, first 2 shown]
	v_pack_b32_f16 v31, v36, v38
	v_pack_b32_f16 v33, v39, v43
	;; [unrolled: 1-line block ×8, first 2 shown]
	ds_write2_b32 v27, v31, v33 offset0:48 offset1:56
	ds_write2_b32 v27, v3, v2 offset0:16 offset1:24
	;; [unrolled: 1-line block ×3, first 2 shown]
	ds_write2_b32 v27, v6, v1 offset1:8
	s_waitcnt lgkmcnt(0)
	s_barrier
	buffer_gl0_inv
	ds_read2st64_b32 v[1:2], v18 offset1:2
	ds_read2st64_b32 v[3:4], v18 offset0:4 offset1:6
	ds_read2st64_b32 v[5:6], v18 offset0:8 offset1:10
	;; [unrolled: 1-line block ×3, first 2 shown]
	v_mad_u64_u32 v[32:33], null, s1, v0, v[41:42]
	v_mov_b32_e32 v35, v42
	s_load_dwordx2 s[2:3], s[4:5], 0x38
	s_waitcnt lgkmcnt(0)
	s_barrier
	buffer_gl0_inv
	s_lshl_b64 s[0:1], s[0:1], 9
	v_mov_b32_e32 v41, v32
	v_lshlrev_b64 v[32:33], 2, v[34:35]
	v_lshlrev_b64 v[34:35], 2, v[40:41]
	v_lshrrev_b32_e32 v0, 16, v1
	v_lshrrev_b32_e32 v7, 16, v3
	;; [unrolled: 1-line block ×4, first 2 shown]
	v_mul_f16_sdwa v40, v8, v3 dst_sel:DWORD dst_unused:UNUSED_PAD src0_sel:WORD_1 src1_sel:DWORD
	v_mul_f16_sdwa v41, v9, v5 dst_sel:DWORD dst_unused:UNUSED_PAD src0_sel:WORD_1 src1_sel:DWORD
	v_lshrrev_b32_e32 v37, 16, v4
	v_lshrrev_b32_e32 v38, 16, v6
	;; [unrolled: 1-line block ×3, first 2 shown]
	v_mul_f16_sdwa v42, v10, v30 dst_sel:DWORD dst_unused:UNUSED_PAD src0_sel:WORD_1 src1_sel:DWORD
	v_mul_f16_sdwa v43, v8, v4 dst_sel:DWORD dst_unused:UNUSED_PAD src0_sel:WORD_1 src1_sel:DWORD
	;; [unrolled: 1-line block ×4, first 2 shown]
	v_fma_f16 v7, v8, v7, -v40
	v_mul_f16_sdwa v40, v9, v17 dst_sel:DWORD dst_unused:UNUSED_PAD src0_sel:WORD_1 src1_sel:DWORD
	v_fma_f16 v17, v9, v17, -v41
	v_mul_f16_sdwa v41, v10, v27 dst_sel:DWORD dst_unused:UNUSED_PAD src0_sel:WORD_1 src1_sel:DWORD
	v_mul_f16_sdwa v45, v10, v31 dst_sel:DWORD dst_unused:UNUSED_PAD src0_sel:WORD_1 src1_sel:DWORD
	v_fma_f16 v27, v10, v27, -v42
	v_mul_f16_sdwa v42, v8, v37 dst_sel:DWORD dst_unused:UNUSED_PAD src0_sel:WORD_1 src1_sel:DWORD
	v_fma_f16 v37, v8, v37, -v43
	;; [unrolled: 2-line block ×3, first 2 shown]
	v_mul_f16_sdwa v44, v10, v39 dst_sel:DWORD dst_unused:UNUSED_PAD src0_sel:WORD_1 src1_sel:DWORD
	v_fmac_f16_e32 v46, v8, v3
	v_fmac_f16_e32 v40, v9, v5
	;; [unrolled: 1-line block ×3, first 2 shown]
	v_lshrrev_b32_e32 v36, 16, v2
	v_fma_f16 v39, v10, v39, -v45
	v_fmac_f16_e32 v42, v8, v4
	v_fmac_f16_e32 v43, v9, v6
	;; [unrolled: 1-line block ×3, first 2 shown]
	v_sub_f16_e32 v3, v0, v17
	v_sub_f16_e32 v4, v7, v27
	;; [unrolled: 1-line block ×8, first 2 shown]
	v_fma_f16 v0, v0, 2.0, -v3
	v_fma_f16 v7, v7, 2.0, -v4
	;; [unrolled: 1-line block ×8, first 2 shown]
	v_add_f16_e32 v4, v8, v4
	v_sub_f16_e32 v9, v3, v9
	v_sub_f16_e32 v7, v0, v7
	;; [unrolled: 1-line block ×4, first 2 shown]
	v_add_f16_e32 v6, v10, v6
	v_sub_f16_e32 v27, v5, v27
	v_sub_f16_e32 v36, v2, v36
	v_fma_f16 v8, v8, 2.0, -v4
	v_fma_f16 v3, v3, 2.0, -v9
	;; [unrolled: 1-line block ×8, first 2 shown]
	v_pack_b32_f16 v4, v4, v9
	v_pack_b32_f16 v7, v31, v7
	;; [unrolled: 1-line block ×8, first 2 shown]
	ds_write2st64_b32 v28, v7, v4 offset0:2 offset1:3
	ds_write2st64_b32 v29, v8, v6 offset0:2 offset1:3
	ds_write2st64_b32 v28, v0, v3 offset1:1
	ds_write2st64_b32 v29, v1, v5 offset1:1
	s_waitcnt lgkmcnt(0)
	s_barrier
	buffer_gl0_inv
	ds_read2st64_b32 v[0:1], v18 offset1:2
	ds_read2st64_b32 v[2:3], v18 offset0:4 offset1:6
	ds_read2st64_b32 v[4:5], v18 offset0:8 offset1:10
	;; [unrolled: 1-line block ×3, first 2 shown]
	v_add_co_u32 v8, vcc_lo, s2, v32
	v_add_co_ci_u32_e32 v9, vcc_lo, s3, v33, vcc_lo
	v_add_co_u32 v8, vcc_lo, v8, v34
	v_add_co_ci_u32_e32 v9, vcc_lo, v9, v35, vcc_lo
	;; [unrolled: 2-line block ×3, first 2 shown]
	v_add_co_u32 v29, vcc_lo, v27, s0
	s_waitcnt lgkmcnt(2)
	v_lshrrev_b32_e32 v17, 16, v2
	s_waitcnt lgkmcnt(1)
	v_lshrrev_b32_e32 v31, 16, v4
	;; [unrolled: 2-line block ×3, first 2 shown]
	v_lshrrev_b32_e32 v34, 16, v3
	v_lshrrev_b32_e32 v35, 16, v5
	;; [unrolled: 1-line block ×3, first 2 shown]
	v_mul_f16_sdwa v37, v11, v2 dst_sel:DWORD dst_unused:UNUSED_PAD src0_sel:WORD_1 src1_sel:DWORD
	v_mul_f16_sdwa v38, v12, v4 dst_sel:DWORD dst_unused:UNUSED_PAD src0_sel:WORD_1 src1_sel:DWORD
	;; [unrolled: 1-line block ×5, first 2 shown]
	v_lshrrev_b32_e32 v10, 16, v0
	v_mul_f16_sdwa v42, v16, v7 dst_sel:DWORD dst_unused:UNUSED_PAD src0_sel:WORD_1 src1_sel:DWORD
	v_mul_f16_sdwa v43, v11, v17 dst_sel:DWORD dst_unused:UNUSED_PAD src0_sel:WORD_1 src1_sel:DWORD
	v_fma_f16 v17, v11, v17, -v37
	v_mul_f16_sdwa v37, v12, v31 dst_sel:DWORD dst_unused:UNUSED_PAD src0_sel:WORD_1 src1_sel:DWORD
	v_fma_f16 v31, v12, v31, -v38
	;; [unrolled: 2-line block ×5, first 2 shown]
	v_mul_f16_sdwa v41, v16, v36 dst_sel:DWORD dst_unused:UNUSED_PAD src0_sel:WORD_1 src1_sel:DWORD
	v_lshrrev_b32_e32 v33, 16, v1
	v_fma_f16 v36, v16, v36, -v42
	v_fmac_f16_e32 v43, v11, v2
	v_fmac_f16_e32 v37, v12, v4
	;; [unrolled: 1-line block ×6, first 2 shown]
	v_sub_f16_e32 v2, v10, v31
	v_sub_f16_e32 v3, v17, v32
	;; [unrolled: 1-line block ×5, first 2 shown]
	v_fma_f16 v7, v10, 2.0, -v2
	v_sub_f16_e32 v10, v43, v38
	v_sub_f16_e32 v12, v1, v40
	;; [unrolled: 1-line block ×3, first 2 shown]
	v_fma_f16 v11, v17, 2.0, -v3
	v_fma_f16 v13, v33, 2.0, -v4
	;; [unrolled: 1-line block ×7, first 2 shown]
	v_add_f16_e32 v3, v6, v3
	v_sub_f16_e32 v10, v2, v10
	v_add_f16_e32 v5, v12, v5
	v_sub_f16_e32 v14, v4, v14
	v_sub_f16_e32 v11, v7, v11
	;; [unrolled: 1-line block ×5, first 2 shown]
	v_fma_f16 v6, v6, 2.0, -v3
	v_fma_f16 v2, v2, 2.0, -v10
	;; [unrolled: 1-line block ×8, first 2 shown]
	v_pack_b32_f16 v3, v3, v10
	v_pack_b32_f16 v5, v5, v14
	;; [unrolled: 1-line block ×8, first 2 shown]
	ds_write2st64_b32 v18, v3, v5 offset0:12 offset1:14
	ds_write2st64_b32 v18, v2, v4 offset0:4 offset1:6
	;; [unrolled: 1-line block ×3, first 2 shown]
	ds_write2st64_b32 v18, v7, v11 offset1:2
	s_waitcnt lgkmcnt(0)
	s_barrier
	buffer_gl0_inv
	ds_read2st64_b32 v[2:3], v18 offset1:2
	ds_read2st64_b32 v[6:7], v18 offset0:4 offset1:6
	ds_read2st64_b32 v[10:11], v18 offset0:8 offset1:10
	ds_read2st64_b32 v[14:15], v18 offset0:12 offset1:14
	v_add_co_ci_u32_e32 v30, vcc_lo, s1, v28, vcc_lo
	v_add_co_u32 v0, vcc_lo, v29, s0
	v_mov_b32_e32 v18, 0x1400
	v_add_co_ci_u32_e32 v1, vcc_lo, s1, v30, vcc_lo
	v_add_co_u32 v4, vcc_lo, v0, s0
	v_add_co_ci_u32_e32 v5, vcc_lo, s1, v1, vcc_lo
	v_add_co_u32 v12, vcc_lo, v4, s0
	v_add_co_ci_u32_e32 v13, vcc_lo, s1, v5, vcc_lo
	s_waitcnt lgkmcnt(3)
	v_lshrrev_b32_e32 v33, 16, v2
	v_mul_f16_sdwa v34, v23, v2 dst_sel:DWORD dst_unused:UNUSED_PAD src0_sel:WORD_1 src1_sel:DWORD
	v_lshrrev_b32_e32 v35, 16, v3
	v_mul_f16_sdwa v36, v21, v3 dst_sel:DWORD dst_unused:UNUSED_PAD src0_sel:WORD_1 src1_sel:DWORD
	s_waitcnt lgkmcnt(2)
	v_lshrrev_b32_e32 v37, 16, v6
	v_mul_f16_sdwa v38, v20, v6 dst_sel:DWORD dst_unused:UNUSED_PAD src0_sel:WORD_1 src1_sel:DWORD
	v_lshrrev_b32_e32 v39, 16, v7
	v_mul_f16_sdwa v40, v19, v7 dst_sel:DWORD dst_unused:UNUSED_PAD src0_sel:WORD_1 src1_sel:DWORD
	s_waitcnt lgkmcnt(1)
	v_lshrrev_b32_e32 v41, 16, v10
	v_mul_f16_sdwa v42, v22, v10 dst_sel:DWORD dst_unused:UNUSED_PAD src0_sel:WORD_1 src1_sel:DWORD
	v_lshrrev_b32_e32 v43, 16, v11
	v_mul_f16_sdwa v44, v24, v11 dst_sel:DWORD dst_unused:UNUSED_PAD src0_sel:WORD_1 src1_sel:DWORD
	s_waitcnt lgkmcnt(0)
	v_lshrrev_b32_e32 v45, 16, v14
	v_mul_f16_sdwa v46, v26, v14 dst_sel:DWORD dst_unused:UNUSED_PAD src0_sel:WORD_1 src1_sel:DWORD
	v_lshrrev_b32_e32 v47, 16, v15
	v_mul_f16_sdwa v48, v25, v15 dst_sel:DWORD dst_unused:UNUSED_PAD src0_sel:WORD_1 src1_sel:DWORD
	v_mul_f16_sdwa v49, v23, v33 dst_sel:DWORD dst_unused:UNUSED_PAD src0_sel:WORD_1 src1_sel:DWORD
	v_fma_f16 v33, v23, v33, -v34
	v_mul_f16_sdwa v34, v21, v35 dst_sel:DWORD dst_unused:UNUSED_PAD src0_sel:WORD_1 src1_sel:DWORD
	v_fma_f16 v35, v21, v35, -v36
	;; [unrolled: 2-line block ×8, first 2 shown]
	v_fmac_f16_e32 v49, v23, v2
	v_fmac_f16_e32 v34, v21, v3
	;; [unrolled: 1-line block ×5, first 2 shown]
	v_mul_f16_sdwa v2, v33, v18 dst_sel:WORD_1 dst_unused:UNUSED_PAD src0_sel:DWORD src1_sel:DWORD
	v_mul_f16_sdwa v3, v35, v18 dst_sel:WORD_1 dst_unused:UNUSED_PAD src0_sel:DWORD src1_sel:DWORD
	;; [unrolled: 1-line block ×5, first 2 shown]
	v_fmac_f16_e32 v42, v24, v11
	v_mul_f16_sdwa v11, v43, v18 dst_sel:WORD_1 dst_unused:UNUSED_PAD src0_sel:DWORD src1_sel:DWORD
	v_fmac_f16_e32 v44, v26, v14
	v_mul_f16_sdwa v14, v45, v18 dst_sel:WORD_1 dst_unused:UNUSED_PAD src0_sel:DWORD src1_sel:DWORD
	;; [unrolled: 2-line block ×3, first 2 shown]
	v_mul_f16_e32 v18, 0x1400, v49
	v_mul_f16_e32 v19, 0x1400, v34
	;; [unrolled: 1-line block ×3, first 2 shown]
	v_add_co_u32 v16, vcc_lo, v12, s0
	v_mul_f16_e32 v21, 0x1400, v38
	v_mul_f16_e32 v22, 0x1400, v40
	v_add_co_ci_u32_e32 v17, vcc_lo, s1, v13, vcc_lo
	v_mul_f16_e32 v23, 0x1400, v42
	v_mul_f16_e32 v24, 0x1400, v44
	;; [unrolled: 1-line block ×3, first 2 shown]
	v_or_b32_sdwa v2, v2, v18 dst_sel:DWORD dst_unused:UNUSED_PAD src0_sel:DWORD src1_sel:WORD_0
	v_or_b32_sdwa v3, v3, v19 dst_sel:DWORD dst_unused:UNUSED_PAD src0_sel:DWORD src1_sel:WORD_0
	;; [unrolled: 1-line block ×3, first 2 shown]
	v_add_co_u32 v31, vcc_lo, v16, s0
	v_or_b32_sdwa v7, v7, v21 dst_sel:DWORD dst_unused:UNUSED_PAD src0_sel:DWORD src1_sel:WORD_0
	v_or_b32_sdwa v10, v10, v22 dst_sel:DWORD dst_unused:UNUSED_PAD src0_sel:DWORD src1_sel:WORD_0
	v_add_co_ci_u32_e32 v32, vcc_lo, s1, v17, vcc_lo
	v_or_b32_sdwa v11, v11, v23 dst_sel:DWORD dst_unused:UNUSED_PAD src0_sel:DWORD src1_sel:WORD_0
	v_or_b32_sdwa v14, v14, v24 dst_sel:DWORD dst_unused:UNUSED_PAD src0_sel:DWORD src1_sel:WORD_0
	;; [unrolled: 1-line block ×3, first 2 shown]
	global_store_dword v[8:9], v2, off
	global_store_dword v[27:28], v3, off
	;; [unrolled: 1-line block ×8, first 2 shown]
.LBB0_2:
	s_endpgm
	.section	.rodata,"a",@progbits
	.p2align	6, 0x0
	.amdhsa_kernel bluestein_single_back_len1024_dim1_half_op_CI_CI
		.amdhsa_group_segment_fixed_size 4096
		.amdhsa_private_segment_fixed_size 0
		.amdhsa_kernarg_size 104
		.amdhsa_user_sgpr_count 6
		.amdhsa_user_sgpr_private_segment_buffer 1
		.amdhsa_user_sgpr_dispatch_ptr 0
		.amdhsa_user_sgpr_queue_ptr 0
		.amdhsa_user_sgpr_kernarg_segment_ptr 1
		.amdhsa_user_sgpr_dispatch_id 0
		.amdhsa_user_sgpr_flat_scratch_init 0
		.amdhsa_user_sgpr_private_segment_size 0
		.amdhsa_wavefront_size32 1
		.amdhsa_uses_dynamic_stack 0
		.amdhsa_system_sgpr_private_segment_wavefront_offset 0
		.amdhsa_system_sgpr_workgroup_id_x 1
		.amdhsa_system_sgpr_workgroup_id_y 0
		.amdhsa_system_sgpr_workgroup_id_z 0
		.amdhsa_system_sgpr_workgroup_info 0
		.amdhsa_system_vgpr_workitem_id 0
		.amdhsa_next_free_vgpr 59
		.amdhsa_next_free_sgpr 20
		.amdhsa_reserve_vcc 1
		.amdhsa_reserve_flat_scratch 0
		.amdhsa_float_round_mode_32 0
		.amdhsa_float_round_mode_16_64 0
		.amdhsa_float_denorm_mode_32 3
		.amdhsa_float_denorm_mode_16_64 3
		.amdhsa_dx10_clamp 1
		.amdhsa_ieee_mode 1
		.amdhsa_fp16_overflow 0
		.amdhsa_workgroup_processor_mode 1
		.amdhsa_memory_ordered 1
		.amdhsa_forward_progress 0
		.amdhsa_shared_vgpr_count 0
		.amdhsa_exception_fp_ieee_invalid_op 0
		.amdhsa_exception_fp_denorm_src 0
		.amdhsa_exception_fp_ieee_div_zero 0
		.amdhsa_exception_fp_ieee_overflow 0
		.amdhsa_exception_fp_ieee_underflow 0
		.amdhsa_exception_fp_ieee_inexact 0
		.amdhsa_exception_int_div_zero 0
	.end_amdhsa_kernel
	.text
.Lfunc_end0:
	.size	bluestein_single_back_len1024_dim1_half_op_CI_CI, .Lfunc_end0-bluestein_single_back_len1024_dim1_half_op_CI_CI
                                        ; -- End function
	.section	.AMDGPU.csdata,"",@progbits
; Kernel info:
; codeLenInByte = 6804
; NumSgprs: 22
; NumVgprs: 59
; ScratchSize: 0
; MemoryBound: 0
; FloatMode: 240
; IeeeMode: 1
; LDSByteSize: 4096 bytes/workgroup (compile time only)
; SGPRBlocks: 2
; VGPRBlocks: 7
; NumSGPRsForWavesPerEU: 22
; NumVGPRsForWavesPerEU: 59
; Occupancy: 16
; WaveLimiterHint : 1
; COMPUTE_PGM_RSRC2:SCRATCH_EN: 0
; COMPUTE_PGM_RSRC2:USER_SGPR: 6
; COMPUTE_PGM_RSRC2:TRAP_HANDLER: 0
; COMPUTE_PGM_RSRC2:TGID_X_EN: 1
; COMPUTE_PGM_RSRC2:TGID_Y_EN: 0
; COMPUTE_PGM_RSRC2:TGID_Z_EN: 0
; COMPUTE_PGM_RSRC2:TIDIG_COMP_CNT: 0
	.text
	.p2alignl 6, 3214868480
	.fill 48, 4, 3214868480
	.type	__hip_cuid_ae416fb7a46dc4c2,@object ; @__hip_cuid_ae416fb7a46dc4c2
	.section	.bss,"aw",@nobits
	.globl	__hip_cuid_ae416fb7a46dc4c2
__hip_cuid_ae416fb7a46dc4c2:
	.byte	0                               ; 0x0
	.size	__hip_cuid_ae416fb7a46dc4c2, 1

	.ident	"AMD clang version 19.0.0git (https://github.com/RadeonOpenCompute/llvm-project roc-6.4.0 25133 c7fe45cf4b819c5991fe208aaa96edf142730f1d)"
	.section	".note.GNU-stack","",@progbits
	.addrsig
	.addrsig_sym __hip_cuid_ae416fb7a46dc4c2
	.amdgpu_metadata
---
amdhsa.kernels:
  - .args:
      - .actual_access:  read_only
        .address_space:  global
        .offset:         0
        .size:           8
        .value_kind:     global_buffer
      - .actual_access:  read_only
        .address_space:  global
        .offset:         8
        .size:           8
        .value_kind:     global_buffer
      - .actual_access:  read_only
        .address_space:  global
        .offset:         16
        .size:           8
        .value_kind:     global_buffer
      - .actual_access:  read_only
        .address_space:  global
        .offset:         24
        .size:           8
        .value_kind:     global_buffer
      - .actual_access:  read_only
        .address_space:  global
        .offset:         32
        .size:           8
        .value_kind:     global_buffer
      - .offset:         40
        .size:           8
        .value_kind:     by_value
      - .address_space:  global
        .offset:         48
        .size:           8
        .value_kind:     global_buffer
      - .address_space:  global
        .offset:         56
        .size:           8
        .value_kind:     global_buffer
      - .address_space:  global
        .offset:         64
        .size:           8
        .value_kind:     global_buffer
      - .address_space:  global
        .offset:         72
        .size:           8
        .value_kind:     global_buffer
      - .offset:         80
        .size:           4
        .value_kind:     by_value
      - .address_space:  global
        .offset:         88
        .size:           8
        .value_kind:     global_buffer
      - .address_space:  global
        .offset:         96
        .size:           8
        .value_kind:     global_buffer
    .group_segment_fixed_size: 4096
    .kernarg_segment_align: 8
    .kernarg_segment_size: 104
    .language:       OpenCL C
    .language_version:
      - 2
      - 0
    .max_flat_workgroup_size: 128
    .name:           bluestein_single_back_len1024_dim1_half_op_CI_CI
    .private_segment_fixed_size: 0
    .sgpr_count:     22
    .sgpr_spill_count: 0
    .symbol:         bluestein_single_back_len1024_dim1_half_op_CI_CI.kd
    .uniform_work_group_size: 1
    .uses_dynamic_stack: false
    .vgpr_count:     59
    .vgpr_spill_count: 0
    .wavefront_size: 32
    .workgroup_processor_mode: 1
amdhsa.target:   amdgcn-amd-amdhsa--gfx1030
amdhsa.version:
  - 1
  - 2
...

	.end_amdgpu_metadata
